;; amdgpu-corpus repo=ROCm/rocFFT kind=compiled arch=gfx906 opt=O3
	.text
	.amdgcn_target "amdgcn-amd-amdhsa--gfx906"
	.amdhsa_code_object_version 6
	.protected	fft_rtc_fwd_len1440_factors_10_16_3_3_wgs_90_tpt_90_halfLds_half_ip_CI_unitstride_sbrr_dirReg ; -- Begin function fft_rtc_fwd_len1440_factors_10_16_3_3_wgs_90_tpt_90_halfLds_half_ip_CI_unitstride_sbrr_dirReg
	.globl	fft_rtc_fwd_len1440_factors_10_16_3_3_wgs_90_tpt_90_halfLds_half_ip_CI_unitstride_sbrr_dirReg
	.p2align	8
	.type	fft_rtc_fwd_len1440_factors_10_16_3_3_wgs_90_tpt_90_halfLds_half_ip_CI_unitstride_sbrr_dirReg,@function
fft_rtc_fwd_len1440_factors_10_16_3_3_wgs_90_tpt_90_halfLds_half_ip_CI_unitstride_sbrr_dirReg: ; @fft_rtc_fwd_len1440_factors_10_16_3_3_wgs_90_tpt_90_halfLds_half_ip_CI_unitstride_sbrr_dirReg
; %bb.0:
	s_load_dwordx2 s[12:13], s[4:5], 0x50
	s_load_dwordx4 s[8:11], s[4:5], 0x0
	s_load_dwordx2 s[2:3], s[4:5], 0x18
	v_mul_u32_u24_e32 v1, 0x2d9, v0
	v_add_u32_sdwa v5, s6, v1 dst_sel:DWORD dst_unused:UNUSED_PAD src0_sel:DWORD src1_sel:WORD_1
	v_mov_b32_e32 v3, 0
	s_waitcnt lgkmcnt(0)
	v_cmp_lt_u64_e64 s[0:1], s[10:11], 2
	v_mov_b32_e32 v1, 0
	v_mov_b32_e32 v6, v3
	s_and_b64 vcc, exec, s[0:1]
	v_mov_b32_e32 v2, 0
	s_cbranch_vccnz .LBB0_8
; %bb.1:
	s_load_dwordx2 s[0:1], s[4:5], 0x10
	s_add_u32 s6, s2, 8
	s_addc_u32 s7, s3, 0
	v_mov_b32_e32 v1, 0
	v_mov_b32_e32 v2, 0
	s_waitcnt lgkmcnt(0)
	s_add_u32 s14, s0, 8
	s_addc_u32 s15, s1, 0
	s_mov_b64 s[16:17], 1
.LBB0_2:                                ; =>This Inner Loop Header: Depth=1
	s_load_dwordx2 s[18:19], s[14:15], 0x0
                                        ; implicit-def: $vgpr7_vgpr8
	s_waitcnt lgkmcnt(0)
	v_or_b32_e32 v4, s19, v6
	v_cmp_ne_u64_e32 vcc, 0, v[3:4]
	s_and_saveexec_b64 s[0:1], vcc
	s_xor_b64 s[20:21], exec, s[0:1]
	s_cbranch_execz .LBB0_4
; %bb.3:                                ;   in Loop: Header=BB0_2 Depth=1
	v_cvt_f32_u32_e32 v4, s18
	v_cvt_f32_u32_e32 v7, s19
	s_sub_u32 s0, 0, s18
	s_subb_u32 s1, 0, s19
	v_mac_f32_e32 v4, 0x4f800000, v7
	v_rcp_f32_e32 v4, v4
	v_mul_f32_e32 v4, 0x5f7ffffc, v4
	v_mul_f32_e32 v7, 0x2f800000, v4
	v_trunc_f32_e32 v7, v7
	v_mac_f32_e32 v4, 0xcf800000, v7
	v_cvt_u32_f32_e32 v7, v7
	v_cvt_u32_f32_e32 v4, v4
	v_mul_lo_u32 v8, s0, v7
	v_mul_hi_u32 v9, s0, v4
	v_mul_lo_u32 v11, s1, v4
	v_mul_lo_u32 v10, s0, v4
	v_add_u32_e32 v8, v9, v8
	v_add_u32_e32 v8, v8, v11
	v_mul_hi_u32 v9, v4, v10
	v_mul_lo_u32 v11, v4, v8
	v_mul_hi_u32 v13, v4, v8
	v_mul_hi_u32 v12, v7, v10
	v_mul_lo_u32 v10, v7, v10
	v_mul_hi_u32 v14, v7, v8
	v_add_co_u32_e32 v9, vcc, v9, v11
	v_addc_co_u32_e32 v11, vcc, 0, v13, vcc
	v_mul_lo_u32 v8, v7, v8
	v_add_co_u32_e32 v9, vcc, v9, v10
	v_addc_co_u32_e32 v9, vcc, v11, v12, vcc
	v_addc_co_u32_e32 v10, vcc, 0, v14, vcc
	v_add_co_u32_e32 v8, vcc, v9, v8
	v_addc_co_u32_e32 v9, vcc, 0, v10, vcc
	v_add_co_u32_e32 v4, vcc, v4, v8
	v_addc_co_u32_e32 v7, vcc, v7, v9, vcc
	v_mul_lo_u32 v8, s0, v7
	v_mul_hi_u32 v9, s0, v4
	v_mul_lo_u32 v10, s1, v4
	v_mul_lo_u32 v11, s0, v4
	v_add_u32_e32 v8, v9, v8
	v_add_u32_e32 v8, v8, v10
	v_mul_lo_u32 v12, v4, v8
	v_mul_hi_u32 v13, v4, v11
	v_mul_hi_u32 v14, v4, v8
	;; [unrolled: 1-line block ×3, first 2 shown]
	v_mul_lo_u32 v11, v7, v11
	v_mul_hi_u32 v9, v7, v8
	v_add_co_u32_e32 v12, vcc, v13, v12
	v_addc_co_u32_e32 v13, vcc, 0, v14, vcc
	v_mul_lo_u32 v8, v7, v8
	v_add_co_u32_e32 v11, vcc, v12, v11
	v_addc_co_u32_e32 v10, vcc, v13, v10, vcc
	v_addc_co_u32_e32 v9, vcc, 0, v9, vcc
	v_add_co_u32_e32 v8, vcc, v10, v8
	v_addc_co_u32_e32 v9, vcc, 0, v9, vcc
	v_add_co_u32_e32 v4, vcc, v4, v8
	v_addc_co_u32_e32 v9, vcc, v7, v9, vcc
	v_mad_u64_u32 v[7:8], s[0:1], v5, v9, 0
	v_mul_hi_u32 v10, v5, v4
	v_add_co_u32_e32 v11, vcc, v10, v7
	v_addc_co_u32_e32 v12, vcc, 0, v8, vcc
	v_mad_u64_u32 v[7:8], s[0:1], v6, v4, 0
	v_mad_u64_u32 v[9:10], s[0:1], v6, v9, 0
	v_add_co_u32_e32 v4, vcc, v11, v7
	v_addc_co_u32_e32 v4, vcc, v12, v8, vcc
	v_addc_co_u32_e32 v7, vcc, 0, v10, vcc
	v_add_co_u32_e32 v4, vcc, v4, v9
	v_addc_co_u32_e32 v9, vcc, 0, v7, vcc
	v_mul_lo_u32 v10, s19, v4
	v_mul_lo_u32 v11, s18, v9
	v_mad_u64_u32 v[7:8], s[0:1], s18, v4, 0
	v_add3_u32 v8, v8, v11, v10
	v_sub_u32_e32 v10, v6, v8
	v_mov_b32_e32 v11, s19
	v_sub_co_u32_e32 v7, vcc, v5, v7
	v_subb_co_u32_e64 v10, s[0:1], v10, v11, vcc
	v_subrev_co_u32_e64 v11, s[0:1], s18, v7
	v_subbrev_co_u32_e64 v10, s[0:1], 0, v10, s[0:1]
	v_cmp_le_u32_e64 s[0:1], s19, v10
	v_cndmask_b32_e64 v12, 0, -1, s[0:1]
	v_cmp_le_u32_e64 s[0:1], s18, v11
	v_cndmask_b32_e64 v11, 0, -1, s[0:1]
	v_cmp_eq_u32_e64 s[0:1], s19, v10
	v_cndmask_b32_e64 v10, v12, v11, s[0:1]
	v_add_co_u32_e64 v11, s[0:1], 2, v4
	v_addc_co_u32_e64 v12, s[0:1], 0, v9, s[0:1]
	v_add_co_u32_e64 v13, s[0:1], 1, v4
	v_addc_co_u32_e64 v14, s[0:1], 0, v9, s[0:1]
	v_subb_co_u32_e32 v8, vcc, v6, v8, vcc
	v_cmp_ne_u32_e64 s[0:1], 0, v10
	v_cmp_le_u32_e32 vcc, s19, v8
	v_cndmask_b32_e64 v10, v14, v12, s[0:1]
	v_cndmask_b32_e64 v12, 0, -1, vcc
	v_cmp_le_u32_e32 vcc, s18, v7
	v_cndmask_b32_e64 v7, 0, -1, vcc
	v_cmp_eq_u32_e32 vcc, s19, v8
	v_cndmask_b32_e32 v7, v12, v7, vcc
	v_cmp_ne_u32_e32 vcc, 0, v7
	v_cndmask_b32_e64 v7, v13, v11, s[0:1]
	v_cndmask_b32_e32 v8, v9, v10, vcc
	v_cndmask_b32_e32 v7, v4, v7, vcc
.LBB0_4:                                ;   in Loop: Header=BB0_2 Depth=1
	s_andn2_saveexec_b64 s[0:1], s[20:21]
	s_cbranch_execz .LBB0_6
; %bb.5:                                ;   in Loop: Header=BB0_2 Depth=1
	v_cvt_f32_u32_e32 v4, s18
	s_sub_i32 s20, 0, s18
	v_rcp_iflag_f32_e32 v4, v4
	v_mul_f32_e32 v4, 0x4f7ffffe, v4
	v_cvt_u32_f32_e32 v4, v4
	v_mul_lo_u32 v7, s20, v4
	v_mul_hi_u32 v7, v4, v7
	v_add_u32_e32 v4, v4, v7
	v_mul_hi_u32 v4, v5, v4
	v_mul_lo_u32 v7, v4, s18
	v_add_u32_e32 v8, 1, v4
	v_sub_u32_e32 v7, v5, v7
	v_subrev_u32_e32 v9, s18, v7
	v_cmp_le_u32_e32 vcc, s18, v7
	v_cndmask_b32_e32 v7, v7, v9, vcc
	v_cndmask_b32_e32 v4, v4, v8, vcc
	v_add_u32_e32 v8, 1, v4
	v_cmp_le_u32_e32 vcc, s18, v7
	v_cndmask_b32_e32 v7, v4, v8, vcc
	v_mov_b32_e32 v8, v3
.LBB0_6:                                ;   in Loop: Header=BB0_2 Depth=1
	s_or_b64 exec, exec, s[0:1]
	v_mul_lo_u32 v4, v8, s18
	v_mul_lo_u32 v11, v7, s19
	v_mad_u64_u32 v[9:10], s[0:1], v7, s18, 0
	s_load_dwordx2 s[0:1], s[6:7], 0x0
	s_add_u32 s16, s16, 1
	v_add3_u32 v4, v10, v11, v4
	v_sub_co_u32_e32 v5, vcc, v5, v9
	v_subb_co_u32_e32 v4, vcc, v6, v4, vcc
	s_waitcnt lgkmcnt(0)
	v_mul_lo_u32 v4, s0, v4
	v_mul_lo_u32 v6, s1, v5
	v_mad_u64_u32 v[1:2], s[0:1], s0, v5, v[1:2]
	s_addc_u32 s17, s17, 0
	s_add_u32 s6, s6, 8
	v_add3_u32 v2, v6, v2, v4
	v_mov_b32_e32 v4, s10
	v_mov_b32_e32 v5, s11
	s_addc_u32 s7, s7, 0
	v_cmp_ge_u64_e32 vcc, s[16:17], v[4:5]
	s_add_u32 s14, s14, 8
	s_addc_u32 s15, s15, 0
	s_cbranch_vccnz .LBB0_9
; %bb.7:                                ;   in Loop: Header=BB0_2 Depth=1
	v_mov_b32_e32 v5, v7
	v_mov_b32_e32 v6, v8
	s_branch .LBB0_2
.LBB0_8:
	v_mov_b32_e32 v8, v6
	v_mov_b32_e32 v7, v5
.LBB0_9:
	s_lshl_b64 s[0:1], s[10:11], 3
	s_add_u32 s0, s2, s0
	s_addc_u32 s1, s3, s1
	s_load_dwordx2 s[2:3], s[0:1], 0x0
	s_load_dwordx2 s[6:7], s[4:5], 0x20
                                        ; implicit-def: $vgpr9
                                        ; implicit-def: $vgpr10
                                        ; implicit-def: $vgpr20
                                        ; implicit-def: $vgpr15
                                        ; implicit-def: $vgpr16
                                        ; implicit-def: $vgpr17
                                        ; implicit-def: $vgpr11
                                        ; implicit-def: $vgpr18
                                        ; implicit-def: $vgpr19
                                        ; implicit-def: $vgpr12
                                        ; implicit-def: $vgpr14
                                        ; implicit-def: $vgpr13
                                        ; implicit-def: $vgpr21
                                        ; implicit-def: $vgpr22
                                        ; implicit-def: $vgpr23
                                        ; implicit-def: $vgpr24
                                        ; implicit-def: $vgpr25
                                        ; implicit-def: $vgpr26
                                        ; implicit-def: $vgpr27
                                        ; implicit-def: $vgpr28
	s_waitcnt lgkmcnt(0)
	v_mad_u64_u32 v[1:2], s[0:1], s2, v7, v[1:2]
	v_mul_lo_u32 v3, s2, v8
	v_mul_lo_u32 v4, s3, v7
	s_mov_b32 s0, 0x2d82d83
	v_mul_hi_u32 v5, v0, s0
	v_cmp_gt_u64_e64 s[0:1], s[6:7], v[7:8]
	v_add3_u32 v2, v4, v2, v3
	v_lshlrev_b64 v[6:7], 2, v[1:2]
	v_mul_u32_u24_e32 v3, 0x5a, v5
	v_sub_u32_e32 v4, v0, v3
                                        ; implicit-def: $vgpr0
                                        ; implicit-def: $vgpr1
                                        ; implicit-def: $vgpr8
                                        ; implicit-def: $vgpr3
                                        ; implicit-def: $vgpr2
                                        ; implicit-def: $vgpr5
	s_and_saveexec_b64 s[2:3], s[0:1]
	s_cbranch_execz .LBB0_13
; %bb.10:
	v_mov_b32_e32 v5, 0
	v_mov_b32_e32 v0, s13
	v_add_co_u32_e32 v8, vcc, s12, v6
	v_addc_co_u32_e32 v11, vcc, v0, v7, vcc
	v_lshlrev_b64 v[0:1], 2, v[4:5]
	v_or_b32_e32 v2, 0x480, v4
	v_add_co_u32_e32 v0, vcc, v8, v0
	v_addc_co_u32_e32 v1, vcc, v11, v1, vcc
	global_load_dword v9, v[0:1], off
	global_load_dword v10, v[0:1], off offset:576
	global_load_dword v24, v[0:1], off offset:1152
	;; [unrolled: 1-line block ×7, first 2 shown]
	v_mov_b32_e32 v3, v5
	v_lshlrev_b64 v[2:3], 2, v[2:3]
	s_mov_b32 s7, 0x7060302
	v_add_co_u32_e32 v2, vcc, v8, v2
	v_addc_co_u32_e32 v3, vcc, v11, v3, vcc
	v_add_co_u32_e32 v11, vcc, 0x1000, v0
	v_addc_co_u32_e32 v12, vcc, 0, v1, vcc
	global_load_dword v27, v[2:3], off
	global_load_dword v5, v[11:12], off offset:1088
	v_cmp_gt_u32_e32 vcc, 54, v4
	s_mov_b32 s6, 0x5040100
                                        ; implicit-def: $vgpr21
                                        ; implicit-def: $vgpr13
                                        ; implicit-def: $vgpr2
                                        ; implicit-def: $vgpr14
                                        ; implicit-def: $vgpr3
                                        ; implicit-def: $vgpr12
                                        ; implicit-def: $vgpr19
                                        ; implicit-def: $vgpr18
                                        ; implicit-def: $vgpr11
                                        ; implicit-def: $vgpr17
                                        ; implicit-def: $vgpr8
                                        ; implicit-def: $vgpr16
                                        ; implicit-def: $vgpr15
                                        ; implicit-def: $vgpr20
	s_and_saveexec_b64 s[4:5], vcc
	s_cbranch_execz .LBB0_12
; %bb.11:
	global_load_dword v20, v[0:1], off offset:360
	global_load_dword v12, v[0:1], off offset:1512
	global_load_dword v8, v[0:1], off offset:2664
	v_add_co_u32_e32 v15, vcc, 0x1000, v0
	v_addc_co_u32_e32 v16, vcc, 0, v1, vcc
	global_load_dword v11, v[15:16], off offset:872
	global_load_dword v2, v[15:16], off offset:296
	global_load_dword v19, v[0:1], off offset:3816
	global_load_dword v3, v[0:1], off offset:3240
	global_load_dword v14, v[0:1], off offset:2088
	global_load_dword v21, v[0:1], off offset:936
	global_load_dword v13, v[15:16], off offset:1448
	s_mov_b32 s10, 0xffff
	s_waitcnt vmcnt(6)
	v_lshrrev_b32_e32 v17, 16, v11
	v_lshrrev_b32_e32 v15, 16, v12
	v_lshrrev_b32_e32 v16, 16, v8
	s_waitcnt vmcnt(4)
	v_lshrrev_b32_e32 v18, 16, v19
	v_bfi_b32 v12, s10, v12, v20
.LBB0_12:
	s_or_b64 exec, exec, s[4:5]
	s_waitcnt vmcnt(9)
	v_lshrrev_b32_e32 v0, 16, v9
	s_waitcnt vmcnt(8)
	v_lshrrev_b32_e32 v1, 16, v10
	s_waitcnt vmcnt(5)
	v_perm_b32 v22, v25, v24, s7
	s_waitcnt vmcnt(1)
	v_perm_b32 v23, v26, v27, s7
	v_perm_b32 v24, v25, v24, s6
	;; [unrolled: 1-line block ×4, first 2 shown]
	s_waitcnt vmcnt(0)
	v_perm_b32 v27, v30, v5, s7
	v_perm_b32 v28, v29, v28, s6
	;; [unrolled: 1-line block ×3, first 2 shown]
.LBB0_13:
	s_or_b64 exec, exec, s[2:3]
	v_pk_add_f16 v29, v28, v28 op_sel:[0,1] op_sel_hi:[1,0] neg_lo:[0,1] neg_hi:[0,1]
	v_pk_add_f16 v30, v5, v5 op_sel:[0,1] op_sel_hi:[1,0] neg_lo:[0,1] neg_hi:[0,1]
	v_pk_add_f16 v30, v29, v30
	v_pk_add_f16 v29, v28, v5
	v_pk_fma_f16 v29, v29, 0.5, v10 op_sel_hi:[1,0,0] neg_lo:[1,0,0] neg_hi:[1,0,0]
	v_add_f16_e32 v10, v28, v10
	s_movk_i32 s7, 0x3b9c
	v_pk_add_f16 v31, v26, v27 neg_lo:[0,1] neg_hi:[0,1]
	v_add_f16_sdwa v10, v10, v28 dst_sel:DWORD dst_unused:UNUSED_PAD src0_sel:DWORD src1_sel:WORD_1
	v_pk_mul_f16 v32, v31, s7 op_sel_hi:[1,0]
	v_add_f16_sdwa v10, v10, v5 dst_sel:DWORD dst_unused:UNUSED_PAD src0_sel:DWORD src1_sel:WORD_1
	v_pk_add_f16 v33, v29, v32 op_sel:[0,1] op_sel_hi:[1,0]
	v_pk_add_f16 v29, v29, v32 op_sel:[0,1] op_sel_hi:[1,0] neg_lo:[0,1] neg_hi:[0,1]
	v_add_f16_e32 v10, v10, v5
	v_pk_add_f16 v5, v28, v5 neg_lo:[0,1] neg_hi:[0,1]
	v_pk_add_f16 v28, v26, v26 op_sel:[0,1] op_sel_hi:[1,0] neg_lo:[0,1] neg_hi:[0,1]
	v_pk_add_f16 v32, v27, v27 op_sel:[0,1] op_sel_hi:[1,0] neg_lo:[0,1] neg_hi:[0,1]
	s_movk_i32 s5, 0x38b4
	v_pk_add_f16 v32, v28, v32
	v_alignbit_b32 v28, v29, v33, 16
	v_alignbit_b32 v29, v33, v29, 16
	v_pk_mul_f16 v31, v31, s5 op_sel_hi:[1,0]
	v_pk_add_f16 v28, v31, v28 op_sel:[1,0] op_sel_hi:[0,1]
	v_pk_add_f16 v31, v29, v31 op_sel:[0,1] op_sel_hi:[1,0] neg_lo:[0,1] neg_hi:[0,1]
	s_movk_i32 s6, 0x34f2
	v_pk_fma_f16 v29, v30, s6, v28 op_sel_hi:[1,0,1]
	v_pk_fma_f16 v28, v30, s6, v31 op_sel_hi:[1,0,1]
	v_pk_add_f16 v30, v26, v27
	v_pk_fma_f16 v30, v30, 0.5, v1 op_sel_hi:[1,0,0] neg_lo:[1,0,0] neg_hi:[1,0,0]
	v_pk_fma_f16 v31, v5, s7, v30 op_sel:[0,0,1] op_sel_hi:[1,0,0] neg_lo:[1,0,0] neg_hi:[1,0,0]
	v_pk_fma_f16 v30, v5, s7, v30 op_sel:[0,0,1] op_sel_hi:[1,0,0]
	s_mov_b32 s4, 0xffff
	v_bfi_b32 v33, s4, v31, v30
	v_bfi_b32 v30, s4, v30, v31
	v_pk_mul_f16 v5, v5, s5 op_sel_hi:[1,0]
	v_pk_add_f16 v31, v33, v5 op_sel:[0,1] op_sel_hi:[1,0] neg_lo:[0,1] neg_hi:[0,1]
	v_pk_add_f16 v5, v5, v30 op_sel:[1,0] op_sel_hi:[0,1]
	v_pk_fma_f16 v31, v32, s6, v31 op_sel_hi:[1,0,1]
	v_pk_fma_f16 v30, v32, s6, v5 op_sel_hi:[1,0,1]
	v_pk_add_f16 v5, v24, v24 op_sel:[0,1] op_sel_hi:[1,0] neg_lo:[0,1] neg_hi:[0,1]
	v_pk_add_f16 v32, v25, v25 op_sel:[0,1] op_sel_hi:[1,0] neg_lo:[0,1] neg_hi:[0,1]
	v_pk_add_f16 v5, v5, v32
	v_pk_add_f16 v32, v24, v25
	v_pk_add_f16 v33, v22, v23 neg_lo:[0,1] neg_hi:[0,1]
	v_pk_fma_f16 v32, v32, 0.5, v9 op_sel_hi:[1,0,0] neg_lo:[1,0,0] neg_hi:[1,0,0]
	v_pk_mul_f16 v34, v33, s7 op_sel_hi:[1,0]
	v_pk_add_f16 v35, v32, v34 op_sel:[0,1] op_sel_hi:[1,0]
	v_pk_add_f16 v32, v32, v34 op_sel:[0,1] op_sel_hi:[1,0] neg_lo:[0,1] neg_hi:[0,1]
	v_alignbit_b32 v34, v32, v35, 16
	v_alignbit_b32 v32, v35, v32, 16
	v_pk_mul_f16 v33, v33, s5 op_sel_hi:[1,0]
	v_add_f16_e32 v9, v24, v9
	v_pk_add_f16 v34, v33, v34 op_sel:[1,0] op_sel_hi:[0,1]
	v_pk_add_f16 v32, v32, v33 op_sel:[0,1] op_sel_hi:[1,0] neg_lo:[0,1] neg_hi:[0,1]
	v_add_f16_sdwa v9, v9, v24 dst_sel:DWORD dst_unused:UNUSED_PAD src0_sel:DWORD src1_sel:WORD_1
	s_mov_b32 s11, 0x34f23a79
	v_pk_fma_f16 v34, v5, s6, v34 op_sel_hi:[1,0,1]
	v_pk_fma_f16 v5, v5, s6, v32 op_sel_hi:[1,0,1]
	v_add_f16_sdwa v9, v9, v25 dst_sel:DWORD dst_unused:UNUSED_PAD src0_sel:DWORD src1_sel:WORD_1
	s_mov_b32 s2, 0x3b9c38b4
	v_pk_mul_f16 v32, v29, s11
	v_add_f16_e32 v9, v9, v25
	v_pk_fma_f16 v32, v31, s2, v32
	v_pk_mul_f16 v36, v28, s11
	v_pack_b32_f16 v33, v9, v34
	v_pack_b32_f16 v35, v10, v32
	v_pk_fma_f16 v42, v30, s2, v36 neg_lo:[0,0,1] neg_hi:[0,0,1]
	s_mov_b32 s14, 0x7060302
	v_pk_add_f16 v35, v33, v35 neg_lo:[0,1] neg_hi:[0,1]
	v_pk_add_f16 v33, v34, v32
	v_perm_b32 v34, v5, v34, s14
	v_perm_b32 v32, v42, v32, s14
	v_pk_add_f16 v36, v34, v32 neg_lo:[0,1] neg_hi:[0,1]
	v_pk_add_f16 v32, v5, v42
	v_alignbit_b32 v34, v32, v32, 16
	v_mul_u32_u24_e32 v32, 10, v4
	v_lshl_add_u32 v32, v32, 1, 0
	ds_write_b128 v32, v[33:36] offset:2
	v_add_f16_e32 v9, v9, v10
	v_sub_f16_e32 v10, v12, v8
	v_sub_f16_e32 v33, v11, v19
	v_add_f16_e32 v40, v10, v33
	v_sub_f16_e32 v10, v8, v12
	v_sub_f16_e32 v33, v19, v11
	v_add_f16_e32 v41, v10, v33
	v_pk_add_f16 v10, v14, v3 neg_lo:[0,1] neg_hi:[0,1]
	v_pk_add_f16 v33, v13, v2 neg_lo:[0,1] neg_hi:[0,1]
	v_pk_add_f16 v10, v10, v33
	v_add_f16_e32 v33, v3, v2
	v_pk_add_f16 v37, v14, v13 neg_lo:[0,1] neg_hi:[0,1]
	v_pk_add_f16 v38, v3, v2 neg_lo:[0,1] neg_hi:[0,1]
	s_mov_b32 s10, 0xbb9c
	v_fma_f16 v33, v33, -0.5, v21
	v_lshrrev_b32_e32 v34, 16, v37
	v_bfi_b32 v10, s4, v10, v38
	s_mov_b32 s2, 0x38b434f2
	v_fma_f16 v35, v34, s7, v33
	v_fma_f16 v33, v34, s10, v33
	v_pk_mul_f16 v10, v10, s2
	v_add_f16_sdwa v34, v10, v35 dst_sel:DWORD dst_unused:UNUSED_PAD src0_sel:WORD_1 src1_sel:DWORD
	v_sub_f16_sdwa v33, v33, v10 dst_sel:DWORD dst_unused:UNUSED_PAD src0_sel:DWORD src1_sel:WORD_1
	v_add_f16_e32 v36, v10, v34
	v_add_f16_e32 v33, v10, v33
	v_sub_f16_sdwa v10, v14, v3 dst_sel:DWORD dst_unused:UNUSED_PAD src0_sel:WORD_1 src1_sel:WORD_1
	v_sub_f16_sdwa v34, v13, v2 dst_sel:DWORD dst_unused:UNUSED_PAD src0_sel:WORD_1 src1_sel:WORD_1
	v_add_f16_e32 v10, v10, v34
	v_lshrrev_b32_e32 v35, 16, v21
	v_add_f16_sdwa v34, v3, v2 dst_sel:DWORD dst_unused:UNUSED_PAD src0_sel:WORD_1 src1_sel:WORD_1
	v_sub_f16_e32 v5, v5, v42
	v_fma_f16 v34, v34, -0.5, v35
	ds_write_b16 v32, v5 offset:18
	v_add_f16_e32 v5, v8, v19
	s_mov_b32 s15, 0xb8b4
	v_fma_f16 v39, v37, s10, v34
	v_fma_f16 v34, v37, s7, v34
	v_fma_f16 v46, v5, -0.5, v20
	v_sub_f16_e32 v48, v15, v17
	v_fma_f16 v39, v38, s15, v39
	v_fma_f16 v34, v38, s5, v34
	;; [unrolled: 1-line block ×3, first 2 shown]
	v_sub_f16_e32 v49, v16, v18
	v_fma_f16 v39, v10, s6, v39
	v_fma_f16 v34, v10, s6, v34
	v_pk_add_f16 v10, v3, v14 neg_lo:[0,1] neg_hi:[0,1]
	v_pk_add_f16 v43, v2, v13 neg_lo:[0,1] neg_hi:[0,1]
	v_fma_f16 v5, v49, s5, v5
	v_pk_add_f16 v10, v10, v43
	v_pk_add_f16 v43, v14, v13
	v_fma_f16 v42, v40, s6, v5
	v_add_f16_e32 v5, v12, v11
	v_pk_fma_f16 v43, v43, 0.5, v21 op_sel_hi:[1,0,1] neg_lo:[1,0,0] neg_hi:[1,0,0]
	v_pk_mul_f16 v38, v38, s7 op_sel_hi:[1,0]
	v_fma_f16 v47, v5, -0.5, v20
	v_pk_add_f16 v44, v43, v38 op_sel:[0,1] op_sel_hi:[1,0]
	v_pk_mul_f16 v37, v37, s5 op_sel_hi:[1,0]
	v_fma_f16 v5, v49, s10, v47
	v_pk_add_f16 v38, v43, v38 op_sel:[0,1] op_sel_hi:[1,0] neg_lo:[0,1] neg_hi:[0,1]
	v_pk_add_f16 v43, v44, v37 op_sel:[0,1] op_sel_hi:[1,0] neg_lo:[0,1] neg_hi:[0,1]
	v_fma_f16 v5, v48, s5, v5
	v_pk_add_f16 v38, v37, v38 op_sel:[1,0] op_sel_hi:[0,1]
	v_pk_fma_f16 v37, v10, s6, v43 op_sel_hi:[1,0,1]
	v_fma_f16 v44, v41, s6, v5
	v_mul_f16_e32 v5, 0x3a79, v36
	v_pk_fma_f16 v38, v10, s6, v38 op_sel_hi:[1,0,1]
	v_fma_f16 v43, v39, s5, v5
	v_mul_f16_sdwa v5, v37, s7 dst_sel:DWORD dst_unused:UNUSED_PAD src0_sel:WORD_1 src1_sel:DWORD
	v_fma_f16 v45, v38, s6, v5
	ds_write_b16 v32, v9
	s_movk_i32 s16, 0x3a79
	v_cmp_gt_u32_e32 vcc, 54, v4
	v_sub_f16_e32 v10, v42, v43
	v_sub_f16_e32 v9, v44, v45
	v_add_u32_e32 v5, 0x5a, v4
	s_and_saveexec_b64 s[2:3], vcc
	s_cbranch_execz .LBB0_15
; %bb.14:
	v_mul_f16_e32 v51, 0x38b4, v49
	v_mul_f16_e32 v49, 0x3b9c, v49
	;; [unrolled: 1-line block ×4, first 2 shown]
	v_add_f16_e32 v47, v47, v49
	v_add_f16_e32 v20, v20, v12
	v_pk_add_f16 v21, v21, v14
	v_mul_f16_e32 v41, 0x34f2, v41
	v_sub_f16_e32 v46, v46, v50
	v_sub_f16_e32 v47, v47, v48
	v_add_f16_e32 v20, v20, v8
	v_pk_add_f16 v21, v21, v3
	v_mul_f16_e32 v40, 0x34f2, v40
	v_sub_f16_e32 v46, v46, v51
	v_add_f16_e32 v41, v41, v47
	v_lshrrev_b32_e32 v47, 16, v38
	v_mul_f16_e32 v48, 0xb4f2, v37
	v_add_f16_e32 v20, v20, v19
	v_pk_add_f16 v21, v21, v2
	v_add_f16_e32 v40, v40, v46
	v_mul_f16_e32 v46, 0xba79, v33
	v_fma_f16 v47, v47, s7, v48
	v_add_f16_e32 v20, v11, v20
	v_pk_add_f16 v21, v13, v21
	s_mov_b32 s17, 0x5040100
	v_fma_f16 v46, v34, s5, v46
	v_sub_f16_e32 v48, v41, v47
	v_sub_f16_e32 v49, v20, v21
	v_add_f16_e32 v41, v41, v47
	v_add_f16_e32 v44, v44, v45
	v_perm_b32 v21, v42, v21, s17
	v_perm_b32 v20, v43, v20, s17
	v_sub_f16_e32 v50, v40, v46
	v_add_f16_e32 v40, v40, v46
	v_mad_u32_u24 v45, v5, 20, 0
	v_pk_add_f16 v20, v21, v20
	v_pack_b32_f16 v21, v44, v41
	ds_write2_b32 v45, v20, v21 offset1:1
	v_pack_b32_f16 v20, v40, v49
	v_perm_b32 v21, v9, v10, s17
	ds_write2_b32 v45, v20, v21 offset0:2 offset1:3
	v_pack_b32_f16 v20, v48, v50
	ds_write_b32 v45, v20 offset:16
.LBB0_15:
	s_or_b64 exec, exec, s[2:3]
	v_add_f16_e32 v20, v22, v0
	v_add_f16_sdwa v20, v20, v22 dst_sel:DWORD dst_unused:UNUSED_PAD src0_sel:DWORD src1_sel:WORD_1
	v_add_f16_sdwa v20, v20, v23 dst_sel:DWORD dst_unused:UNUSED_PAD src0_sel:DWORD src1_sel:WORD_1
	v_pk_add_f16 v21, v24, v25 neg_lo:[0,1] neg_hi:[0,1]
	v_pk_add_f16 v24, v22, v23
	v_add_f16_e32 v20, v20, v23
	v_pk_fma_f16 v0, v24, -0.5, v0 op_sel_hi:[1,0,0]
	v_pk_add_f16 v22, v22, v22 op_sel:[0,1] op_sel_hi:[1,0] neg_lo:[0,1] neg_hi:[0,1]
	v_pk_add_f16 v23, v23, v23 op_sel:[0,1] op_sel_hi:[1,0] neg_lo:[0,1] neg_hi:[0,1]
	v_add_f16_e32 v1, v26, v1
	v_pk_add_f16 v22, v22, v23
	v_pk_fma_f16 v23, v21, s7, v0 op_sel:[0,0,1] op_sel_hi:[1,0,0] neg_lo:[1,0,0] neg_hi:[1,0,0]
	v_pk_fma_f16 v0, v21, s7, v0 op_sel:[0,0,1] op_sel_hi:[1,0,0]
	v_add_f16_sdwa v1, v1, v26 dst_sel:DWORD dst_unused:UNUSED_PAD src0_sel:DWORD src1_sel:WORD_1
	v_pk_mul_f16 v24, v21, s5 op_sel_hi:[1,0]
	v_bfi_b32 v21, s4, v23, v0
	s_mov_b32 s2, 0xbb9cb8b4
	v_bfi_b32 v0, s4, v0, v23
	v_add_f16_sdwa v1, v1, v27 dst_sel:DWORD dst_unused:UNUSED_PAD src0_sel:DWORD src1_sel:WORD_1
	v_pk_add_f16 v21, v21, v24 op_sel:[0,1] op_sel_hi:[1,0] neg_lo:[0,1] neg_hi:[0,1]
	v_pk_mul_f16 v25, v29, s2
	v_pk_add_f16 v0, v24, v0 op_sel:[1,0] op_sel_hi:[0,1]
	v_add_f16_e32 v1, v1, v27
	v_pk_fma_f16 v21, v22, s6, v21 op_sel_hi:[1,0,1]
	v_pk_fma_f16 v25, v31, s11, v25
	v_pk_fma_f16 v0, v22, s6, v0 op_sel_hi:[1,0,1]
	v_pk_mul_f16 v22, v30, s11
	v_add_f16_e32 v47, v20, v1
	v_pk_fma_f16 v22, v28, s2, v22 neg_lo:[0,0,1] neg_hi:[0,0,1]
	v_pack_b32_f16 v20, v20, v21
	v_pack_b32_f16 v1, v1, v25
	v_pk_add_f16 v50, v0, v22
	v_pk_add_f16 v48, v20, v1 neg_lo:[0,1] neg_hi:[0,1]
	v_perm_b32 v1, v0, v21, s14
	v_perm_b32 v20, v22, v25, s14
	v_sub_f16_e32 v51, v0, v22
	v_lshrrev_b32_e32 v41, 16, v12
	v_add_f16_e32 v0, v16, v18
	v_pk_add_f16 v49, v1, v20 neg_lo:[0,1] neg_hi:[0,1]
	v_fma_f16 v40, v0, -0.5, v41
	v_sub_f16_e32 v0, v15, v16
	v_sub_f16_e32 v1, v17, v18
	v_add_f16_e32 v43, v0, v1
	v_add_f16_e32 v0, v15, v17
	v_mul_f16_e32 v0, 0.5, v0
	s_mov_b32 s2, 0x5040100
	v_perm_b32 v0, v0, v11, s2
	v_pk_add_f16 v45, v12, v0 neg_lo:[0,1] neg_hi:[0,1]
	v_sub_f16_e32 v42, v8, v19
	v_sub_f16_e32 v8, v16, v15
	;; [unrolled: 1-line block ×3, first 2 shown]
	v_fma_f16 v0, v45, s10, v40
	v_mul_f16_e32 v1, 0x3b9c, v42
	v_add_f16_e32 v8, v8, v19
	v_mul_f16_e32 v19, 0xb8b4, v36
	v_fma_f16 v0, v42, s15, v0
	v_lshrrev_b32_e32 v12, 16, v45
	v_fma_f16 v36, v39, s16, v19
	v_fma_f16 v39, v43, s6, v0
	v_pack_b32_f16 v0, s5, v1
	v_pk_mul_f16 v11, v45, s5
	v_fma_f16 v12, v42, s10, v12
	v_pk_add_f16 v1, v45, v0
	v_lshlrev_b32_e32 v19, 16, v11
	v_pack_b32_f16 v11, v12, v11
	v_pk_add_f16 v1, v1, v19 neg_lo:[0,1] neg_hi:[0,1]
	v_pk_fma_f16 v0, v45, v0, v11
	v_mul_f16_e32 v8, 0x34f2, v8
	v_bfi_b32 v0, s4, v0, v1
	s_mov_b32 s3, 0x34f23b9c
	v_pk_add_f16 v44, v8, v0 op_sel_hi:[0,1]
	s_mov_b32 s2, 0x34f2bb9c
	v_pk_mul_f16 v0, v38, s3
	v_pk_fma_f16 v37, v37, s2, v0 op_sel:[0,0,1] op_sel_hi:[1,1,0] neg_lo:[0,0,1] neg_hi:[0,0,1]
	s_movk_i32 s2, 0xffee
	v_bfi_b32 v0, s4, v39, v44
	v_bfi_b32 v1, s4, v36, v37
	v_mad_i32_i24 v8, v4, s2, v32
	v_pk_add_f16 v46, v21, v25
	v_pk_add_f16 v11, v0, v1 neg_lo:[0,1] neg_hi:[0,1]
	s_waitcnt lgkmcnt(0)
	s_barrier
	ds_read_u16 v19, v8
	ds_read_u16 v31, v8 offset:180
	ds_read_u16 v30, v8 offset:360
	;; [unrolled: 1-line block ×15, first 2 shown]
	s_waitcnt lgkmcnt(0)
	s_barrier
	ds_write_b16 v32, v47
	v_alignbit_b32 v47, v50, v50, 16
	ds_write_b128 v32, v[46:49] offset:2
	ds_write_b16 v32, v51 offset:18
	s_and_saveexec_b64 s[2:3], vcc
	s_cbranch_execz .LBB0_17
; %bb.16:
	v_add_f16_sdwa v14, v35, v14 dst_sel:DWORD dst_unused:UNUSED_PAD src0_sel:DWORD src1_sel:WORD_1
	v_add_f16_e32 v15, v41, v15
	v_add_f16_sdwa v3, v14, v3 dst_sel:DWORD dst_unused:UNUSED_PAD src0_sel:DWORD src1_sel:WORD_1
	v_mul_f16_e32 v32, 0x38b4, v42
	v_mul_f16_e32 v42, 0x3b9c, v45
	v_add_f16_e32 v15, v15, v16
	v_add_f16_sdwa v2, v3, v2 dst_sel:DWORD dst_unused:UNUSED_PAD src0_sel:DWORD src1_sel:WORD_1
	v_add_f16_e32 v15, v15, v18
	v_add_f16_sdwa v2, v13, v2 dst_sel:DWORD dst_unused:UNUSED_PAD src0_sel:WORD_1 src1_sel:DWORD
	v_add_f16_e32 v13, v42, v40
	v_mul_f16_e32 v38, 0x34f2, v43
	v_add_f16_e32 v15, v17, v15
	v_add_f16_e32 v13, v32, v13
	v_mul_f16_e32 v17, 0xba79, v34
	s_mov_b32 s4, 0xb8b4
	v_add_f16_e32 v13, v38, v13
	v_fma_f16 v17, v33, s4, v17
	v_add_f16_e32 v3, v2, v15
	v_add_f16_e32 v18, v13, v17
	v_sub_f16_e32 v2, v15, v2
	v_sub_f16_e32 v13, v13, v17
	v_mul_u32_u24_e32 v17, 10, v5
	v_add_f16_e32 v14, v39, v36
	v_pk_add_f16 v16, v44, v37
	v_sub_f16_e32 v15, v44, v37
	v_lshl_add_u32 v17, v17, 1, 0
	v_pack_b32_f16 v2, v18, v2
	v_alignbit_b32 v16, v16, v16, 16
	v_pack_b32_f16 v3, v3, v14
	ds_write2_b32 v17, v2, v11 offset0:2 offset1:3
	v_pack_b32_f16 v2, v15, v13
	ds_write2_b32 v17, v3, v16 offset1:1
	ds_write_b32 v17, v2 offset:16
.LBB0_17:
	s_or_b64 exec, exec, s[2:3]
	s_movk_i32 s2, 0xcd
	v_mul_lo_u16_sdwa v15, v4, s2 dst_sel:DWORD dst_unused:UNUSED_PAD src0_sel:BYTE_0 src1_sel:DWORD
	v_lshrrev_b16_e32 v50, 11, v15
	v_mul_lo_u16_e32 v15, 10, v50
	v_sub_u16_e32 v54, v4, v15
	v_mov_b32_e32 v15, 15
	v_mul_u32_u24_sdwa v15, v54, v15 dst_sel:DWORD dst_unused:UNUSED_PAD src0_sel:BYTE_0 src1_sel:DWORD
	v_lshlrev_b32_e32 v44, 2, v15
	s_waitcnt lgkmcnt(0)
	s_barrier
	ds_read_u16 v13, v8
	ds_read_u16 v2, v8 offset:180
	ds_read_u16 v3, v8 offset:360
	;; [unrolled: 1-line block ×15, first 2 shown]
	global_load_dwordx4 v[15:18], v44, s[8:9]
	s_movk_i32 s2, 0x39a8
	s_mov_b32 s3, 0xb9a8
	s_mov_b32 s6, 0xb61f
	;; [unrolled: 1-line block ×3, first 2 shown]
	s_movk_i32 s7, 0x361f
	s_movk_i32 s11, 0x3b64
	v_mul_u32_u24_e32 v50, 0xa0, v50
	v_or_b32_sdwa v50, v50, v54 dst_sel:DWORD dst_unused:UNUSED_PAD src0_sel:DWORD src1_sel:BYTE_0
	v_lshl_add_u32 v50, v50, 1, 0
	s_waitcnt vmcnt(0) lgkmcnt(14)
	v_mul_f16_sdwa v45, v2, v15 dst_sel:DWORD dst_unused:UNUSED_PAD src0_sel:DWORD src1_sel:WORD_1
	v_fma_f16 v45, v31, v15, -v45
	v_mul_f16_sdwa v31, v31, v15 dst_sel:DWORD dst_unused:UNUSED_PAD src0_sel:DWORD src1_sel:WORD_1
	v_fma_f16 v31, v2, v15, v31
	s_waitcnt lgkmcnt(13)
	v_mul_f16_sdwa v2, v3, v16 dst_sel:DWORD dst_unused:UNUSED_PAD src0_sel:DWORD src1_sel:WORD_1
	v_fma_f16 v46, v30, v16, -v2
	v_mul_f16_sdwa v2, v30, v16 dst_sel:DWORD dst_unused:UNUSED_PAD src0_sel:DWORD src1_sel:WORD_1
	v_fma_f16 v16, v3, v16, v2
	s_waitcnt lgkmcnt(12)
	;; [unrolled: 5-line block ×3, first 2 shown]
	v_mul_f16_sdwa v1, v33, v18 dst_sel:DWORD dst_unused:UNUSED_PAD src0_sel:DWORD src1_sel:WORD_1
	v_fma_f16 v32, v0, v18, -v1
	v_mul_f16_sdwa v0, v0, v18 dst_sel:DWORD dst_unused:UNUSED_PAD src0_sel:DWORD src1_sel:WORD_1
	v_fma_f16 v15, v33, v18, v0
	global_load_dwordx4 v[0:3], v44, s[8:9] offset:16
	s_waitcnt vmcnt(0) lgkmcnt(10)
	v_mul_f16_sdwa v18, v34, v0 dst_sel:DWORD dst_unused:UNUSED_PAD src0_sel:DWORD src1_sel:WORD_1
	v_fma_f16 v18, v29, v0, -v18
	v_mul_f16_sdwa v29, v29, v0 dst_sel:DWORD dst_unused:UNUSED_PAD src0_sel:DWORD src1_sel:WORD_1
	v_fma_f16 v33, v34, v0, v29
	s_waitcnt lgkmcnt(9)
	v_mul_f16_sdwa v0, v35, v1 dst_sel:DWORD dst_unused:UNUSED_PAD src0_sel:DWORD src1_sel:WORD_1
	v_fma_f16 v34, v28, v1, -v0
	v_mul_f16_sdwa v0, v28, v1 dst_sel:DWORD dst_unused:UNUSED_PAD src0_sel:DWORD src1_sel:WORD_1
	v_fma_f16 v35, v35, v1, v0
	s_waitcnt lgkmcnt(8)
	v_mul_f16_sdwa v0, v36, v2 dst_sel:DWORD dst_unused:UNUSED_PAD src0_sel:DWORD src1_sel:WORD_1
	v_fma_f16 v48, v27, v2, -v0
	v_mul_f16_sdwa v0, v27, v2 dst_sel:DWORD dst_unused:UNUSED_PAD src0_sel:DWORD src1_sel:WORD_1
	global_load_dwordx4 v[27:30], v44, s[8:9] offset:32
	v_fma_f16 v36, v36, v2, v0
	s_waitcnt lgkmcnt(7)
	v_mul_f16_sdwa v0, v14, v3 dst_sel:DWORD dst_unused:UNUSED_PAD src0_sel:DWORD src1_sel:WORD_1
	v_fma_f16 v49, v12, v3, -v0
	s_waitcnt vmcnt(0) lgkmcnt(6)
	v_mul_f16_sdwa v0, v37, v27 dst_sel:DWORD dst_unused:UNUSED_PAD src0_sel:DWORD src1_sel:WORD_1
	v_fma_f16 v51, v26, v27, -v0
	v_mul_f16_sdwa v0, v26, v27 dst_sel:DWORD dst_unused:UNUSED_PAD src0_sel:DWORD src1_sel:WORD_1
	v_fma_f16 v26, v37, v27, v0
	s_waitcnt lgkmcnt(5)
	v_mul_f16_sdwa v0, v38, v28 dst_sel:DWORD dst_unused:UNUSED_PAD src0_sel:DWORD src1_sel:WORD_1
	v_fma_f16 v27, v25, v28, -v0
	v_mul_f16_sdwa v0, v25, v28 dst_sel:DWORD dst_unused:UNUSED_PAD src0_sel:DWORD src1_sel:WORD_1
	v_fma_f16 v25, v38, v28, v0
	s_waitcnt lgkmcnt(4)
	;; [unrolled: 5-line block ×3, first 2 shown]
	v_mul_f16_sdwa v0, v40, v30 dst_sel:DWORD dst_unused:UNUSED_PAD src0_sel:DWORD src1_sel:WORD_1
	v_fma_f16 v29, v23, v30, -v0
	v_mul_f16_sdwa v0, v23, v30 dst_sel:DWORD dst_unused:UNUSED_PAD src0_sel:DWORD src1_sel:WORD_1
	v_fma_f16 v23, v40, v30, v0
	global_load_dwordx3 v[0:2], v44, s[8:9] offset:48
	v_sub_f16_e32 v25, v16, v25
	v_sub_f16_e32 v24, v17, v24
	;; [unrolled: 1-line block ×4, first 2 shown]
	v_fma_f16 v19, v19, 2.0, -v39
	v_sub_f16_e32 v26, v31, v26
	v_sub_f16_e32 v28, v47, v28
	v_fma_f16 v31, v31, 2.0, -v26
	v_fma_f16 v40, v47, 2.0, -v28
	s_waitcnt vmcnt(0) lgkmcnt(0)
	s_barrier
	v_mul_f16_sdwa v30, v41, v0 dst_sel:DWORD dst_unused:UNUSED_PAD src0_sel:DWORD src1_sel:WORD_1
	v_fma_f16 v30, v22, v0, -v30
	v_mul_f16_sdwa v22, v22, v0 dst_sel:DWORD dst_unused:UNUSED_PAD src0_sel:DWORD src1_sel:WORD_1
	v_fma_f16 v22, v41, v0, v22
	v_mul_f16_sdwa v0, v42, v1 dst_sel:DWORD dst_unused:UNUSED_PAD src0_sel:DWORD src1_sel:WORD_1
	v_fma_f16 v37, v21, v1, -v0
	v_mul_f16_sdwa v0, v21, v1 dst_sel:DWORD dst_unused:UNUSED_PAD src0_sel:DWORD src1_sel:WORD_1
	v_fma_f16 v21, v42, v1, v0
	v_mul_f16_sdwa v0, v43, v2 dst_sel:DWORD dst_unused:UNUSED_PAD src0_sel:DWORD src1_sel:WORD_1
	v_fma_f16 v38, v20, v2, -v0
	v_mul_f16_sdwa v0, v20, v2 dst_sel:DWORD dst_unused:UNUSED_PAD src0_sel:DWORD src1_sel:WORD_1
	v_fma_f16 v20, v43, v2, v0
	v_sub_f16_e32 v20, v36, v20
	v_sub_f16_e32 v0, v32, v29
	v_fma_f16 v2, v16, 2.0, -v25
	v_sub_f16_e32 v16, v34, v37
	v_sub_f16_e32 v21, v35, v21
	v_fma_f16 v41, v17, 2.0, -v24
	v_sub_f16_e32 v38, v48, v38
	v_fma_f16 v36, v36, 2.0, -v20
	;; [unrolled: 2-line block ×3, first 2 shown]
	v_fma_f16 v29, v46, 2.0, -v27
	v_fma_f16 v32, v34, 2.0, -v16
	;; [unrolled: 1-line block ×3, first 2 shown]
	v_sub_f16_e32 v35, v45, v51
	v_sub_f16_e32 v30, v18, v30
	;; [unrolled: 1-line block ×3, first 2 shown]
	v_fma_f16 v42, v48, 2.0, -v38
	v_sub_f16_e32 v48, v41, v36
	v_fma_f16 v37, v45, 2.0, -v35
	v_fma_f16 v18, v18, 2.0, -v30
	;; [unrolled: 1-line block ×3, first 2 shown]
	v_sub_f16_e32 v23, v19, v23
	v_sub_f16_e32 v44, v39, v1
	;; [unrolled: 1-line block ×4, first 2 shown]
	v_add_f16_e32 v30, v26, v30
	v_fma_f16 v36, v41, 2.0, -v48
	v_add_f16_e32 v41, v24, v38
	v_fma_f16 v43, v19, 2.0, -v23
	v_fma_f16 v29, v29, 2.0, -v17
	v_add_f16_e32 v16, v25, v16
	v_fma_f16 v27, v27, 2.0, -v21
	v_sub_f16_e32 v32, v37, v18
	v_sub_f16_e32 v33, v31, v33
	;; [unrolled: 1-line block ×3, first 2 shown]
	v_fma_f16 v26, v26, 2.0, -v30
	v_sub_f16_e32 v47, v40, v42
	v_sub_f16_e32 v20, v28, v20
	v_fma_f16 v24, v24, 2.0, -v41
	v_mul_f16_e32 v42, 0x39a8, v21
	v_fma_f16 v21, v21, s2, v44
	v_sub_f16_e32 v19, v2, v34
	v_fma_f16 v34, v37, 2.0, -v32
	v_fma_f16 v18, v31, 2.0, -v33
	;; [unrolled: 1-line block ×4, first 2 shown]
	v_sub_f16_e32 v29, v43, v29
	v_fma_f16 v21, v16, s3, v21
	v_fma_f16 v37, v24, s3, v26
	v_fma_f16 v39, v39, 2.0, -v44
	v_fma_f16 v25, v25, 2.0, -v16
	;; [unrolled: 1-line block ×4, first 2 shown]
	v_mul_f16_e32 v43, 0x39a8, v16
	v_fma_f16 v16, v44, 2.0, -v21
	v_sub_f16_e32 v44, v18, v36
	v_fma_f16 v36, v28, s3, v31
	v_fma_f16 v37, v28, s2, v37
	v_mul_f16_e32 v38, 0x39a8, v27
	v_fma_f16 v27, v27, s3, v39
	v_sub_f16_e32 v35, v34, v35
	v_fma_f16 v36, v24, s3, v36
	v_fma_f16 v46, v26, 2.0, -v37
	v_sub_f16_e32 v24, v32, v48
	v_add_f16_e32 v26, v33, v47
	v_mul_f16_e32 v40, 0x39a8, v25
	v_fma_f16 v25, v25, s3, v27
	v_sub_f16_e32 v55, v23, v19
	v_fma_f16 v34, v34, 2.0, -v35
	v_fma_f16 v45, v31, 2.0, -v36
	;; [unrolled: 1-line block ×4, first 2 shown]
	v_fma_f16 v32, v20, s2, v22
	v_fma_f16 v33, v41, s2, v30
	v_fma_f16 v27, v39, 2.0, -v25
	v_fma_f16 v23, v23, 2.0, -v55
	v_fma_f16 v39, v41, s3, v32
	v_fma_f16 v41, v20, s2, v33
	v_sub_f16_e32 v20, v49, v34
	v_fma_f16 v47, v22, 2.0, -v39
	v_fma_f16 v22, v49, 2.0, -v20
	v_mul_f16_e32 v49, 0x39a8, v28
	v_fma_f16 v28, v28, s3, v23
	v_fma_f16 v48, v30, 2.0, -v41
	v_mul_f16_e32 v51, 0x39a8, v31
	v_fma_f16 v28, v31, s3, v28
	v_fma_f16 v31, v47, s6, v16
	;; [unrolled: 1-line block ×3, first 2 shown]
	v_fma_f16 v32, v16, 2.0, -v31
	v_fma_f16 v16, v36, s7, v25
	v_fma_f16 v34, v37, s10, v16
	;; [unrolled: 1-line block ×4, first 2 shown]
	v_mul_f16_e32 v52, 0x39a8, v24
	v_fma_f16 v24, v26, s3, v16
	v_fma_f16 v16, v39, s11, v21
	;; [unrolled: 1-line block ×3, first 2 shown]
	v_sub_f16_e32 v33, v29, v44
	v_fma_f16 v16, v41, s6, v16
	v_fma_f16 v27, v27, 2.0, -v30
	v_fma_f16 v23, v23, 2.0, -v28
	;; [unrolled: 1-line block ×4, first 2 shown]
	v_mul_f16_e32 v53, 0x39a8, v26
	v_fma_f16 v26, v55, 2.0, -v24
	v_fma_f16 v21, v21, 2.0, -v16
	ds_write_b16 v50, v22
	ds_write_b16 v50, v27 offset:20
	ds_write_b16 v50, v23 offset:40
	ds_write_b16 v50, v32 offset:60
	ds_write_b16 v50, v29 offset:80
	ds_write_b16 v50, v25 offset:100
	ds_write_b16 v50, v26 offset:120
	ds_write_b16 v50, v21 offset:140
	ds_write_b16 v50, v20 offset:160
	ds_write_b16 v50, v30 offset:180
	ds_write_b16 v50, v28 offset:200
	ds_write_b16 v50, v31 offset:220
	ds_write_b16 v50, v33 offset:240
	ds_write_b16 v50, v34 offset:260
	ds_write_b16 v50, v24 offset:280
	ds_write_b16 v50, v16 offset:300
	s_waitcnt lgkmcnt(0)
	s_barrier
	ds_read_u16 v22, v8
	ds_read_u16 v34, v8 offset:960
	ds_read_u16 v33, v8 offset:1920
	;; [unrolled: 1-line block ×14, first 2 shown]
	v_cmp_gt_u32_e64 s[2:3], 30, v4
	s_and_saveexec_b64 s[4:5], s[2:3]
	s_cbranch_execz .LBB0_19
; %bb.18:
	ds_read_u16 v16, v8 offset:900
	ds_read_u16 v10, v8 offset:1860
	;; [unrolled: 1-line block ×3, first 2 shown]
.LBB0_19:
	s_or_b64 exec, exec, s[4:5]
	v_mul_f16_sdwa v12, v12, v3 dst_sel:DWORD dst_unused:UNUSED_PAD src0_sel:DWORD src1_sel:WORD_1
	v_fma_f16 v3, v14, v3, v12
	v_sub_f16_e32 v3, v13, v3
	v_fma_f16 v12, v13, 2.0, -v3
	v_fma_f16 v1, v15, 2.0, -v1
	v_sub_f16_e32 v1, v12, v1
	v_add_f16_e32 v0, v3, v0
	v_fma_f16 v12, v12, 2.0, -v1
	v_fma_f16 v3, v3, 2.0, -v0
	;; [unrolled: 1-line block ×3, first 2 shown]
	v_sub_f16_e32 v2, v12, v2
	v_sub_f16_e32 v13, v3, v40
	v_add_f16_e32 v13, v38, v13
	v_add_f16_e32 v35, v2, v35
	v_fma_f16 v12, v12, 2.0, -v2
	v_add_f16_e32 v14, v1, v17
	v_add_f16_e32 v15, v0, v43
	v_fma_f16 v40, v2, 2.0, -v35
	v_fma_f16 v2, v37, s7, v13
	v_fma_f16 v3, v3, 2.0, -v13
	v_add_f16_e32 v15, v42, v15
	v_fma_f16 v36, v36, s11, v2
	v_add_f16_e32 v2, v14, v53
	v_fma_f16 v1, v1, 2.0, -v14
	v_fma_f16 v0, v0, 2.0, -v15
	v_fma_f16 v17, v18, 2.0, -v44
	v_fma_f16 v18, v46, s10, v3
	v_add_f16_e32 v37, v52, v2
	v_fma_f16 v2, v41, s11, v15
	v_sub_f16_e32 v17, v12, v17
	v_fma_f16 v18, v45, s7, v18
	v_sub_f16_e32 v19, v1, v51
	v_fma_f16 v38, v48, s6, v0
	v_fma_f16 v2, v39, s7, v2
	v_fma_f16 v12, v12, 2.0, -v17
	v_fma_f16 v3, v3, 2.0, -v18
	v_add_f16_e32 v19, v49, v19
	v_fma_f16 v38, v47, s11, v38
	v_fma_f16 v15, v15, 2.0, -v2
	v_fma_f16 v1, v1, 2.0, -v19
	;; [unrolled: 1-line block ×5, first 2 shown]
	s_waitcnt lgkmcnt(0)
	s_barrier
	ds_write_b16 v50, v12
	ds_write_b16 v50, v3 offset:20
	ds_write_b16 v50, v1 offset:40
	;; [unrolled: 1-line block ×15, first 2 shown]
	s_waitcnt lgkmcnt(0)
	s_barrier
	ds_read_u16 v39, v8 offset:1140
	ds_read_u16 v40, v8 offset:1320
	ds_read_u16 v19, v8
	ds_read_u16 v18, v8 offset:180
	ds_read_u16 v17, v8 offset:360
	;; [unrolled: 1-line block ×12, first 2 shown]
	v_lshrrev_b32_e32 v37, 16, v11
	s_and_saveexec_b64 s[4:5], s[2:3]
	s_cbranch_execz .LBB0_21
; %bb.20:
	ds_read_u16 v2, v8 offset:900
	ds_read_u16 v11, v8 offset:1860
	;; [unrolled: 1-line block ×3, first 2 shown]
.LBB0_21:
	s_or_b64 exec, exec, s[4:5]
	v_lshlrev_b32_e32 v60, 1, v4
	v_mov_b32_e32 v61, 0
	v_lshlrev_b64 v[0:1], 2, v[60:61]
	v_mov_b32_e32 v41, s9
	v_add_co_u32_e32 v0, vcc, s8, v0
	v_addc_co_u32_e32 v1, vcc, v41, v1, vcc
	s_movk_i32 s4, 0x46
	v_add_u32_e32 v13, 0xffffffba, v4
	v_cmp_gt_u32_e32 vcc, s4, v4
	v_cndmask_b32_e32 v13, v13, v5, vcc
	v_lshlrev_b32_e32 v62, 1, v13
	v_mov_b32_e32 v63, v61
	v_lshlrev_b64 v[13:14], 2, v[62:63]
	v_add_u32_e32 v53, 40, v60
	v_mov_b32_e32 v54, v61
	v_add_co_u32_e32 v13, vcc, s8, v13
	v_lshlrev_b64 v[53:54], 2, v[53:54]
	v_addc_co_u32_e32 v14, vcc, v41, v14, vcc
	v_add_u32_e32 v12, 0x10e, v4
	v_add_co_u32_e32 v53, vcc, s8, v53
	s_mov_b32 s4, 0xcccd
	v_addc_co_u32_e32 v54, vcc, v41, v54, vcc
	v_mul_u32_u24_sdwa v41, v12, s4 dst_sel:DWORD dst_unused:UNUSED_PAD src0_sel:WORD_0 src1_sel:DWORD
	v_lshrrev_b32_e32 v67, 23, v41
	global_load_dwordx2 v[45:46], v[0:1], off offset:600
	global_load_dwordx2 v[55:56], v[13:14], off offset:600
	v_mul_lo_u16_e32 v13, 0xa0, v67
	v_sub_u16_e32 v41, v12, v13
	v_lshlrev_b32_e32 v13, 3, v41
	v_add_u32_e32 v14, 0x168, v4
	global_load_dwordx2 v[57:58], v[53:54], off offset:600
	global_load_dwordx2 v[63:64], v13, s[8:9] offset:600
	v_mul_u32_u24_sdwa v13, v14, s4 dst_sel:DWORD dst_unused:UNUSED_PAD src0_sel:WORD_0 src1_sel:DWORD
	v_lshrrev_b32_e32 v13, 23, v13
	v_mul_lo_u16_e32 v13, 0xa0, v13
	v_sub_u16_e32 v68, v14, v13
	v_lshlrev_b32_e32 v13, 3, v68
	global_load_dwordx2 v[53:54], v13, s[8:9] offset:600
	v_add_u32_e32 v13, 0x1c2, v4
	v_mul_u32_u24_sdwa v43, v13, s4 dst_sel:DWORD dst_unused:UNUSED_PAD src0_sel:WORD_0 src1_sel:DWORD
	v_lshrrev_b32_e32 v43, 23, v43
	v_mul_lo_u16_e32 v43, 0xa0, v43
	v_sub_u16_e32 v69, v13, v43
	v_lshlrev_b32_e32 v43, 3, v69
	global_load_dwordx2 v[65:66], v43, s[8:9] offset:600
	v_lshlrev_b32_e32 v70, 1, v41
	s_movk_i32 s4, 0x3aee
	s_mov_b32 s5, 0xbaee
	s_waitcnt vmcnt(0) lgkmcnt(0)
	s_barrier
	v_mul_f16_sdwa v43, v34, v45 dst_sel:DWORD dst_unused:UNUSED_PAD src0_sel:DWORD src1_sel:WORD_1
	v_mul_f16_sdwa v47, v36, v46 dst_sel:DWORD dst_unused:UNUSED_PAD src0_sel:DWORD src1_sel:WORD_1
	;; [unrolled: 1-line block ×4, first 2 shown]
	v_fma_f16 v35, v35, v45, v43
	v_fma_f16 v33, v33, v46, -v47
	v_fma_f16 v36, v36, v46, v49
	v_mul_f16_sdwa v43, v30, v55 dst_sel:DWORD dst_unused:UNUSED_PAD src0_sel:DWORD src1_sel:WORD_1
	v_mul_f16_sdwa v46, v42, v56 dst_sel:DWORD dst_unused:UNUSED_PAD src0_sel:DWORD src1_sel:WORD_1
	;; [unrolled: 1-line block ×4, first 2 shown]
	v_fma_f16 v34, v34, v45, -v41
	v_mul_f16_sdwa v75, v52, v53 dst_sel:DWORD dst_unused:UNUSED_PAD src0_sel:DWORD src1_sel:WORD_1
	v_mul_f16_sdwa v76, v25, v53 dst_sel:DWORD dst_unused:UNUSED_PAD src0_sel:DWORD src1_sel:WORD_1
	v_fma_f16 v45, v39, v55, v43
	v_fma_f16 v43, v28, v56, -v46
	v_fma_f16 v46, v42, v56, v47
	v_fma_f16 v42, v40, v57, v51
	v_fma_f16 v51, v25, v53, -v75
	v_mul_f16_sdwa v25, v38, v54 dst_sel:DWORD dst_unused:UNUSED_PAD src0_sel:DWORD src1_sel:WORD_1
	v_mul_f16_sdwa v49, v40, v57 dst_sel:DWORD dst_unused:UNUSED_PAD src0_sel:DWORD src1_sel:WORD_1
	v_fma_f16 v52, v52, v53, v76
	v_fma_f16 v53, v26, v54, -v25
	v_mul_f16_sdwa v25, v26, v54 dst_sel:DWORD dst_unused:UNUSED_PAD src0_sel:DWORD src1_sel:WORD_1
	v_mul_f16_sdwa v41, v39, v55 dst_sel:DWORD dst_unused:UNUSED_PAD src0_sel:DWORD src1_sel:WORD_1
	v_fma_f16 v39, v32, v57, -v49
	v_fma_f16 v57, v38, v54, v25
	v_mul_f16_sdwa v25, v11, v65 dst_sel:DWORD dst_unused:UNUSED_PAD src0_sel:DWORD src1_sel:WORD_1
	v_fma_f16 v54, v10, v65, -v25
	v_mul_f16_sdwa v10, v10, v65 dst_sel:DWORD dst_unused:UNUSED_PAD src0_sel:DWORD src1_sel:WORD_1
	v_fma_f16 v41, v30, v55, -v41
	v_fma_f16 v55, v11, v65, v10
	v_mul_f16_sdwa v10, v37, v66 dst_sel:DWORD dst_unused:UNUSED_PAD src0_sel:DWORD src1_sel:WORD_1
	v_mul_f16_sdwa v59, v44, v58 dst_sel:DWORD dst_unused:UNUSED_PAD src0_sel:DWORD src1_sel:WORD_1
	;; [unrolled: 1-line block ×3, first 2 shown]
	v_fma_f16 v56, v9, v66, -v10
	v_mul_f16_sdwa v9, v9, v66 dst_sel:DWORD dst_unused:UNUSED_PAD src0_sel:DWORD src1_sel:WORD_1
	v_fma_f16 v40, v31, v58, -v59
	v_fma_f16 v44, v44, v58, v61
	v_fma_f16 v58, v37, v66, v9
	v_add_f16_e32 v9, v22, v34
	v_add_f16_e32 v25, v9, v33
	;; [unrolled: 1-line block ×3, first 2 shown]
	v_fma_f16 v9, v9, -0.5, v22
	v_sub_f16_e32 v10, v35, v36
	v_mul_f16_sdwa v73, v50, v64 dst_sel:DWORD dst_unused:UNUSED_PAD src0_sel:DWORD src1_sel:WORD_1
	v_fma_f16 v22, v10, s4, v9
	v_fma_f16 v26, v10, s5, v9
	v_add_f16_e32 v9, v20, v41
	v_mul_f16_sdwa v74, v27, v64 dst_sel:DWORD dst_unused:UNUSED_PAD src0_sel:DWORD src1_sel:WORD_1
	v_fma_f16 v49, v27, v64, -v73
	v_add_f16_e32 v27, v9, v43
	v_add_f16_e32 v9, v41, v43
	v_fma_f16 v9, v9, -0.5, v20
	v_sub_f16_e32 v10, v45, v46
	v_mul_f16_sdwa v71, v48, v63 dst_sel:DWORD dst_unused:UNUSED_PAD src0_sel:DWORD src1_sel:WORD_1
	v_fma_f16 v20, v10, s4, v9
	v_fma_f16 v28, v10, s5, v9
	v_add_f16_e32 v9, v21, v39
	v_mul_f16_sdwa v72, v29, v63 dst_sel:DWORD dst_unused:UNUSED_PAD src0_sel:DWORD src1_sel:WORD_1
	v_fma_f16 v47, v29, v63, -v71
	v_add_f16_e32 v29, v9, v40
	v_add_f16_e32 v9, v39, v40
	v_fma_f16 v9, v9, -0.5, v21
	v_sub_f16_e32 v10, v42, v44
	v_fma_f16 v21, v10, s4, v9
	v_fma_f16 v30, v10, s5, v9
	v_add_f16_e32 v9, v23, v47
	v_fma_f16 v48, v48, v63, v72
	v_fma_f16 v50, v50, v64, v74
	v_add_f16_e32 v31, v9, v49
	v_add_f16_e32 v9, v47, v49
	v_fma_f16 v9, v9, -0.5, v23
	v_sub_f16_e32 v10, v48, v50
	v_fma_f16 v23, v10, s4, v9
	v_fma_f16 v32, v10, s5, v9
	v_add_f16_e32 v9, v24, v51
	v_add_f16_e32 v37, v9, v53
	;; [unrolled: 1-line block ×3, first 2 shown]
	v_fma_f16 v9, v9, -0.5, v24
	v_sub_f16_e32 v10, v52, v57
	v_fma_f16 v24, v10, s4, v9
	v_fma_f16 v38, v10, s5, v9
	v_add_f16_e32 v10, v54, v56
	v_add_f16_e32 v9, v16, v54
	v_fma_f16 v10, v10, -0.5, v16
	v_sub_f16_e32 v16, v55, v58
	v_fma_f16 v11, v16, s4, v10
	s_movk_i32 s4, 0x45
	v_fma_f16 v10, v16, s5, v10
	v_mov_b32_e32 v16, 0x3c0
	v_cmp_lt_u32_e32 vcc, s4, v4
	v_cndmask_b32_e32 v16, 0, v16, vcc
	v_add3_u32 v59, 0, v16, v62
	v_mul_u32_u24_e32 v16, 0x3c0, v67
	v_add_f16_e32 v9, v9, v56
	v_add_u32_e32 v61, 0, v60
	v_add3_u32 v62, 0, v16, v70
	v_lshl_add_u32 v63, v68, 1, 0
	v_lshl_add_u32 v60, v69, 1, 0
	ds_write_b16 v8, v25
	ds_write_b16 v8, v22 offset:320
	ds_write_b16 v8, v26 offset:640
	ds_write_b16 v59, v27
	ds_write_b16 v59, v20 offset:320
	ds_write_b16 v59, v28 offset:640
	;; [unrolled: 1-line block ×5, first 2 shown]
	ds_write_b16 v62, v31
	ds_write_b16 v62, v23 offset:320
	ds_write_b16 v62, v32 offset:640
	;; [unrolled: 1-line block ×5, first 2 shown]
	s_and_saveexec_b64 s[4:5], s[2:3]
	s_cbranch_execz .LBB0_23
; %bb.22:
	ds_write_b16 v60, v9 offset:1920
	ds_write_b16 v60, v11 offset:2240
	;; [unrolled: 1-line block ×3, first 2 shown]
.LBB0_23:
	s_or_b64 exec, exec, s[4:5]
	s_waitcnt lgkmcnt(0)
	s_barrier
	ds_read_u16 v24, v8 offset:1140
	ds_read_u16 v28, v8 offset:1320
	ds_read_u16 v20, v8
	ds_read_u16 v22, v8 offset:180
	ds_read_u16 v26, v8 offset:360
	;; [unrolled: 1-line block ×12, first 2 shown]
	s_and_saveexec_b64 s[4:5], s[2:3]
	s_cbranch_execz .LBB0_25
; %bb.24:
	ds_read_u16 v9, v8 offset:900
	ds_read_u16 v11, v8 offset:1860
	;; [unrolled: 1-line block ×3, first 2 shown]
.LBB0_25:
	s_or_b64 exec, exec, s[4:5]
	v_add_f16_e32 v16, v19, v35
	v_add_f16_e32 v64, v16, v36
	;; [unrolled: 1-line block ×3, first 2 shown]
	v_fma_f16 v16, v16, -0.5, v19
	v_sub_f16_e32 v19, v34, v33
	s_mov_b32 s4, 0xbaee
	s_movk_i32 s5, 0x3aee
	v_fma_f16 v33, v19, s4, v16
	v_fma_f16 v19, v19, s5, v16
	v_add_f16_e32 v16, v18, v45
	v_add_f16_e32 v34, v16, v46
	v_add_f16_e32 v16, v45, v46
	v_fma_f16 v16, v16, -0.5, v18
	v_sub_f16_e32 v18, v41, v43
	v_fma_f16 v35, v18, s4, v16
	v_fma_f16 v18, v18, s5, v16
	v_add_f16_e32 v16, v17, v42
	v_add_f16_e32 v36, v16, v44
	v_add_f16_e32 v16, v42, v44
	v_fma_f16 v16, v16, -0.5, v17
	v_sub_f16_e32 v17, v39, v40
	;; [unrolled: 7-line block ×4, first 2 shown]
	v_add_f16_e32 v16, v55, v58
	v_fma_f16 v45, v15, s4, v3
	v_fma_f16 v3, v15, s5, v3
	v_add_f16_e32 v15, v2, v55
	v_fma_f16 v2, v16, -0.5, v2
	v_sub_f16_e32 v16, v54, v56
	v_add_f16_e32 v15, v15, v58
	v_fma_f16 v17, v16, s4, v2
	v_fma_f16 v16, v16, s5, v2
	s_waitcnt lgkmcnt(0)
	s_barrier
	ds_write_b16 v8, v64
	ds_write_b16 v8, v33 offset:320
	ds_write_b16 v8, v19 offset:640
	ds_write_b16 v59, v34
	ds_write_b16 v59, v35 offset:320
	ds_write_b16 v59, v18 offset:640
	;; [unrolled: 1-line block ×5, first 2 shown]
	ds_write_b16 v62, v41
	ds_write_b16 v62, v42 offset:320
	ds_write_b16 v62, v43 offset:640
	ds_write_b16 v63, v44 offset:1920
	ds_write_b16 v63, v45 offset:2240
	ds_write_b16 v63, v3 offset:2560
	s_and_saveexec_b64 s[4:5], s[2:3]
	s_cbranch_execz .LBB0_27
; %bb.26:
	ds_write_b16 v60, v15 offset:1920
	ds_write_b16 v60, v17 offset:2240
	;; [unrolled: 1-line block ×3, first 2 shown]
.LBB0_27:
	s_or_b64 exec, exec, s[4:5]
	s_waitcnt lgkmcnt(0)
	s_barrier
	ds_read_u16 v35, v8 offset:1140
	ds_read_u16 v41, v8 offset:1320
	ds_read_u16 v18, v8
	ds_read_u16 v33, v8 offset:180
	ds_read_u16 v39, v8 offset:360
	;; [unrolled: 1-line block ×12, first 2 shown]
	s_and_saveexec_b64 s[4:5], s[2:3]
	s_cbranch_execz .LBB0_29
; %bb.28:
	ds_read_u16 v15, v8 offset:900
	ds_read_u16 v17, v8 offset:1860
	;; [unrolled: 1-line block ×3, first 2 shown]
.LBB0_29:
	s_or_b64 exec, exec, s[4:5]
	s_and_saveexec_b64 s[4:5], s[0:1]
	s_cbranch_execz .LBB0_32
; %bb.30:
	v_lshlrev_b32_e32 v2, 1, v14
	v_mov_b32_e32 v3, 0
	v_lshlrev_b64 v[48:49], 2, v[2:3]
	v_lshlrev_b32_e32 v2, 1, v12
	v_mov_b32_e32 v8, s9
	v_add_co_u32_e32 v48, vcc, s8, v48
	v_lshlrev_b64 v[50:51], 2, v[2:3]
	v_add_u32_e32 v56, 0xb4, v4
	v_addc_co_u32_e32 v49, vcc, v8, v49, vcc
	v_lshlrev_b32_e32 v2, 1, v56
	v_add_co_u32_e32 v50, vcc, s8, v50
	v_lshlrev_b64 v[52:53], 2, v[2:3]
	v_addc_co_u32_e32 v51, vcc, v8, v51, vcc
	global_load_dwordx2 v[48:49], v[48:49], off offset:1880
	v_add_co_u32_e32 v52, vcc, s8, v52
	global_load_dwordx2 v[50:51], v[50:51], off offset:1880
	v_addc_co_u32_e32 v53, vcc, v8, v53, vcc
	global_load_dwordx2 v[52:53], v[52:53], off offset:1880
	v_lshlrev_b32_e32 v2, 1, v5
	v_lshlrev_b64 v[54:55], 2, v[2:3]
	global_load_dwordx2 v[0:1], v[0:1], off offset:1880
	v_add_co_u32_e32 v54, vcc, s8, v54
	v_addc_co_u32_e32 v55, vcc, v8, v55, vcc
	global_load_dwordx2 v[54:55], v[54:55], off offset:1880
	s_movk_i32 s0, 0x3aee
	s_mov_b32 s1, 0xbaee
	v_add_co_u32_e32 v6, vcc, s12, v6
	s_mov_b32 s5, 0x88888889
	s_movk_i32 s4, 0x1000
	v_mul_hi_u32 v12, v12, s5
	s_waitcnt vmcnt(4) lgkmcnt(0)
	v_mul_f16_sdwa v2, v47, v48 dst_sel:DWORD dst_unused:UNUSED_PAD src0_sel:DWORD src1_sel:WORD_1
	v_mul_f16_sdwa v5, v46, v49 dst_sel:DWORD dst_unused:UNUSED_PAD src0_sel:DWORD src1_sel:WORD_1
	;; [unrolled: 1-line block ×4, first 2 shown]
	v_fma_f16 v2, v38, v48, -v2
	v_fma_f16 v5, v37, v49, -v5
	v_fma_f16 v8, v47, v48, v8
	v_fma_f16 v37, v46, v49, v57
	s_waitcnt vmcnt(3)
	v_mul_f16_sdwa v38, v44, v50 dst_sel:DWORD dst_unused:UNUSED_PAD src0_sel:DWORD src1_sel:WORD_1
	v_mul_f16_sdwa v46, v45, v51 dst_sel:DWORD dst_unused:UNUSED_PAD src0_sel:DWORD src1_sel:WORD_1
	v_mul_f16_sdwa v47, v31, v50 dst_sel:DWORD dst_unused:UNUSED_PAD src0_sel:DWORD src1_sel:WORD_1
	v_mul_f16_sdwa v48, v32, v51 dst_sel:DWORD dst_unused:UNUSED_PAD src0_sel:DWORD src1_sel:WORD_1
	v_sub_f16_e32 v49, v2, v5
	v_add_f16_e32 v57, v8, v37
	v_add_f16_e32 v58, v2, v5
	v_sub_f16_e32 v59, v8, v37
	v_add_f16_e32 v8, v43, v8
	v_add_f16_e32 v2, v30, v2
	v_fma_f16 v31, v31, v50, -v38
	v_fma_f16 v32, v32, v51, -v46
	v_fma_f16 v38, v44, v50, v47
	v_fma_f16 v44, v45, v51, v48
	s_waitcnt vmcnt(2)
	v_mul_f16_sdwa v47, v28, v52 dst_sel:DWORD dst_unused:UNUSED_PAD src0_sel:DWORD src1_sel:WORD_1
	v_mul_f16_sdwa v48, v29, v53 dst_sel:DWORD dst_unused:UNUSED_PAD src0_sel:DWORD src1_sel:WORD_1
	;; [unrolled: 1-line block ×4, first 2 shown]
	v_add_f16_e32 v37, v8, v37
	v_add_f16_e32 v50, v2, v5
	;; [unrolled: 1-line block ×4, first 2 shown]
	v_sub_f16_e32 v51, v38, v44
	v_add_f16_e32 v38, v40, v38
	v_fma_f16 v41, v41, v52, v47
	v_fma_f16 v42, v42, v53, v48
	v_sub_f16_e32 v2, v31, v32
	v_add_f16_e32 v31, v27, v31
	v_fma_f16 v28, v28, v52, -v45
	v_fma_f16 v29, v29, v53, -v46
	v_fma_f16 v5, v5, -0.5, v40
	v_fma_f16 v8, v8, -0.5, v27
	v_add_f16_e32 v27, v38, v44
	v_add_f16_e32 v38, v41, v42
	;; [unrolled: 1-line block ×3, first 2 shown]
	v_sub_f16_e32 v32, v28, v29
	v_fma_f16 v44, v2, s0, v5
	v_fma_f16 v48, v2, s1, v5
	v_fma_f16 v2, v38, -0.5, v39
	v_fma_f16 v43, v57, -0.5, v43
	v_add_f16_e32 v40, v28, v29
	v_fma_f16 v38, v32, s0, v2
	v_fma_f16 v32, v32, s1, v2
	v_add_f16_e32 v2, v39, v41
	v_fma_f16 v45, v49, s0, v43
	v_fma_f16 v43, v49, s1, v43
	;; [unrolled: 1-line block ×4, first 2 shown]
	v_fma_f16 v5, v40, -0.5, v26
	v_sub_f16_e32 v8, v41, v42
	v_add_f16_e32 v39, v2, v42
	v_add_f16_e32 v2, v26, v28
	v_fma_f16 v40, v8, s1, v5
	v_fma_f16 v51, v8, s0, v5
	v_add_f16_e32 v26, v2, v29
	s_waitcnt vmcnt(0)
	v_mul_f16_sdwa v2, v35, v54 dst_sel:DWORD dst_unused:UNUSED_PAD src0_sel:DWORD src1_sel:WORD_1
	v_mul_f16_sdwa v5, v36, v55 dst_sel:DWORD dst_unused:UNUSED_PAD src0_sel:DWORD src1_sel:WORD_1
	v_fma_f16 v2, v24, v54, -v2
	v_fma_f16 v5, v25, v55, -v5
	v_mul_f16_sdwa v24, v24, v54 dst_sel:DWORD dst_unused:UNUSED_PAD src0_sel:DWORD src1_sel:WORD_1
	v_sub_f16_e32 v8, v2, v5
	v_fma_f16 v24, v35, v54, v24
	v_add_f16_e32 v35, v2, v5
	v_add_f16_e32 v2, v22, v2
	;; [unrolled: 1-line block ×3, first 2 shown]
	v_mul_f16_sdwa v5, v19, v0 dst_sel:DWORD dst_unused:UNUSED_PAD src0_sel:DWORD src1_sel:WORD_1
	v_mul_f16_sdwa v25, v25, v55 dst_sel:DWORD dst_unused:UNUSED_PAD src0_sel:DWORD src1_sel:WORD_1
	v_fma_f16 v5, v21, v0, -v5
	v_mul_f16_sdwa v21, v21, v0 dst_sel:DWORD dst_unused:UNUSED_PAD src0_sel:DWORD src1_sel:WORD_1
	v_fma_f16 v25, v36, v55, v25
	v_fma_f16 v35, v35, -0.5, v22
	v_mul_f16_sdwa v22, v34, v1 dst_sel:DWORD dst_unused:UNUSED_PAD src0_sel:DWORD src1_sel:WORD_1
	v_fma_f16 v0, v19, v0, v21
	v_mul_f16_sdwa v19, v23, v1 dst_sel:DWORD dst_unused:UNUSED_PAD src0_sel:DWORD src1_sel:WORD_1
	v_add_f16_e32 v28, v24, v25
	v_fma_f16 v22, v23, v1, -v22
	v_fma_f16 v1, v34, v1, v19
	v_fma_f16 v28, v28, -0.5, v33
	v_sub_f16_e32 v36, v24, v25
	v_add_f16_e32 v24, v33, v24
	v_add_f16_e32 v19, v0, v1
	v_sub_f16_e32 v33, v0, v1
	v_add_f16_e32 v0, v18, v0
	v_fma_f16 v19, v19, -0.5, v18
	v_add_f16_e32 v23, v5, v22
	v_add_f16_e32 v18, v0, v1
	;; [unrolled: 1-line block ×4, first 2 shown]
	v_sub_f16_e32 v25, v5, v22
	v_fma_f16 v23, v23, -0.5, v20
	v_add_f16_e32 v20, v0, v22
	v_mov_b32_e32 v5, v3
	v_mov_b32_e32 v0, s13
	v_addc_co_u32_e32 v7, vcc, v0, v7, vcc
	v_lshlrev_b64 v[0:1], 2, v[4:5]
	v_fma_f16 v21, v25, s0, v19
	v_add_co_u32_e32 v0, vcc, v6, v0
	v_fma_f16 v34, v33, s1, v23
	v_fma_f16 v19, v25, s1, v19
	;; [unrolled: 1-line block ×3, first 2 shown]
	v_addc_co_u32_e32 v1, vcc, v7, v1, vcc
	v_pack_b32_f16 v5, v20, v18
	global_store_dword v[0:1], v5, off
	v_pack_b32_f16 v5, v23, v19
	v_mul_hi_u32 v7, v56, s5
	v_fma_f16 v29, v8, s0, v28
	v_fma_f16 v8, v8, s1, v28
	;; [unrolled: 1-line block ×3, first 2 shown]
	global_store_dword v[0:1], v5, off offset:1920
	v_pack_b32_f16 v5, v34, v21
	v_pack_b32_f16 v2, v2, v24
	v_fma_f16 v41, v36, s1, v35
	global_store_dword v[0:1], v5, off offset:3840
	global_store_dword v[0:1], v2, off offset:360
	v_pack_b32_f16 v2, v28, v8
	v_add_co_u32_e32 v5, vcc, s4, v0
	global_store_dword v[0:1], v2, off offset:2280
	v_pack_b32_f16 v2, v41, v29
	v_addc_co_u32_e32 v6, vcc, 0, v1, vcc
	global_store_dword v[5:6], v2, off offset:104
	v_lshrrev_b32_e32 v2, 8, v7
	v_mul_u32_u24_e32 v2, 0x3c0, v2
	v_lshlrev_b64 v[5:6], 2, v[2:3]
	s_movk_i32 s4, 0x2d0
	v_add_co_u32_e32 v5, vcc, v0, v5
	v_addc_co_u32_e32 v6, vcc, v1, v6, vcc
	v_pack_b32_f16 v2, v26, v39
	v_add_co_u32_e32 v7, vcc, s4, v5
	global_store_dword v[5:6], v2, off offset:720
	v_pack_b32_f16 v2, v51, v32
	v_addc_co_u32_e32 v8, vcc, 0, v6, vcc
	global_store_dword v[5:6], v2, off offset:2640
	v_pack_b32_f16 v2, v40, v38
	global_store_dword v[7:8], v2, off offset:3840
	v_lshrrev_b32_e32 v2, 8, v12
	v_mul_u32_u24_e32 v2, 0x3c0, v2
	v_lshlrev_b64 v[5:6], 2, v[2:3]
	v_mul_hi_u32 v12, v14, s5
	v_add_co_u32_e32 v5, vcc, v0, v5
	v_addc_co_u32_e32 v6, vcc, v1, v6, vcc
	s_movk_i32 s4, 0x438
	v_pack_b32_f16 v2, v31, v27
	v_add_co_u32_e32 v7, vcc, s4, v5
	global_store_dword v[5:6], v2, off offset:1080
	v_pack_b32_f16 v2, v49, v48
	v_addc_co_u32_e32 v8, vcc, 0, v6, vcc
	global_store_dword v[5:6], v2, off offset:3000
	v_pack_b32_f16 v2, v47, v44
	global_store_dword v[7:8], v2, off offset:3840
	v_lshrrev_b32_e32 v2, 8, v12
	v_mul_u32_u24_e32 v2, 0x3c0, v2
	v_lshlrev_b64 v[5:6], 2, v[2:3]
	v_fma_f16 v30, v58, -0.5, v30
	v_add_co_u32_e32 v5, vcc, v0, v5
	v_fma_f16 v46, v59, s1, v30
	v_fma_f16 v30, v59, s0, v30
	v_addc_co_u32_e32 v6, vcc, v1, v6, vcc
	v_pack_b32_f16 v2, v50, v37
	v_add_co_u32_e32 v7, vcc, 0x5a0, v5
	global_store_dword v[5:6], v2, off offset:1440
	v_pack_b32_f16 v2, v30, v43
	v_addc_co_u32_e32 v8, vcc, 0, v6, vcc
	global_store_dword v[5:6], v2, off offset:3360
	v_pack_b32_f16 v2, v46, v45
	global_store_dword v[7:8], v2, off offset:3840
	s_and_b64 exec, exec, s[2:3]
	s_cbranch_execz .LBB0_32
; %bb.31:
	v_subrev_u32_e32 v2, 30, v4
	v_cndmask_b32_e64 v2, v2, v13, s[2:3]
	v_lshlrev_b32_e32 v2, 1, v2
	v_lshlrev_b64 v[2:3], 2, v[2:3]
	v_mov_b32_e32 v4, s9
	v_add_co_u32_e32 v2, vcc, s8, v2
	v_addc_co_u32_e32 v3, vcc, v4, v3, vcc
	global_load_dwordx2 v[2:3], v[2:3], off offset:1880
	v_add_co_u32_e32 v4, vcc, 0x1000, v0
	v_addc_co_u32_e32 v5, vcc, 0, v1, vcc
	s_waitcnt vmcnt(0)
	v_mul_f16_sdwa v6, v17, v2 dst_sel:DWORD dst_unused:UNUSED_PAD src0_sel:DWORD src1_sel:WORD_1
	v_mul_f16_sdwa v7, v11, v2 dst_sel:DWORD dst_unused:UNUSED_PAD src0_sel:DWORD src1_sel:WORD_1
	;; [unrolled: 1-line block ×4, first 2 shown]
	v_fma_f16 v6, v11, v2, -v6
	v_fma_f16 v2, v17, v2, v7
	v_fma_f16 v7, v10, v3, -v8
	v_fma_f16 v3, v16, v3, v12
	v_add_f16_e32 v8, v9, v6
	v_add_f16_e32 v10, v6, v7
	v_sub_f16_e32 v11, v2, v3
	v_add_f16_e32 v12, v15, v2
	v_add_f16_e32 v2, v2, v3
	v_sub_f16_e32 v6, v6, v7
	v_add_f16_e32 v7, v8, v7
	v_fma_f16 v8, v10, -0.5, v9
	v_add_f16_e32 v3, v12, v3
	v_fma_f16 v2, v2, -0.5, v15
	v_fma_f16 v9, v11, s0, v8
	v_fma_f16 v10, v6, s1, v2
	v_pack_b32_f16 v3, v7, v3
	v_fma_f16 v8, v11, s1, v8
	v_fma_f16 v2, v6, s0, v2
	global_store_dword v[0:1], v3, off offset:1800
	v_pack_b32_f16 v3, v9, v10
	v_pack_b32_f16 v2, v8, v2
	global_store_dword v[0:1], v3, off offset:3720
	global_store_dword v[4:5], v2, off offset:1544
.LBB0_32:
	s_endpgm
	.section	.rodata,"a",@progbits
	.p2align	6, 0x0
	.amdhsa_kernel fft_rtc_fwd_len1440_factors_10_16_3_3_wgs_90_tpt_90_halfLds_half_ip_CI_unitstride_sbrr_dirReg
		.amdhsa_group_segment_fixed_size 0
		.amdhsa_private_segment_fixed_size 0
		.amdhsa_kernarg_size 88
		.amdhsa_user_sgpr_count 6
		.amdhsa_user_sgpr_private_segment_buffer 1
		.amdhsa_user_sgpr_dispatch_ptr 0
		.amdhsa_user_sgpr_queue_ptr 0
		.amdhsa_user_sgpr_kernarg_segment_ptr 1
		.amdhsa_user_sgpr_dispatch_id 0
		.amdhsa_user_sgpr_flat_scratch_init 0
		.amdhsa_user_sgpr_private_segment_size 0
		.amdhsa_uses_dynamic_stack 0
		.amdhsa_system_sgpr_private_segment_wavefront_offset 0
		.amdhsa_system_sgpr_workgroup_id_x 1
		.amdhsa_system_sgpr_workgroup_id_y 0
		.amdhsa_system_sgpr_workgroup_id_z 0
		.amdhsa_system_sgpr_workgroup_info 0
		.amdhsa_system_vgpr_workitem_id 0
		.amdhsa_next_free_vgpr 77
		.amdhsa_next_free_sgpr 22
		.amdhsa_reserve_vcc 1
		.amdhsa_reserve_flat_scratch 0
		.amdhsa_float_round_mode_32 0
		.amdhsa_float_round_mode_16_64 0
		.amdhsa_float_denorm_mode_32 3
		.amdhsa_float_denorm_mode_16_64 3
		.amdhsa_dx10_clamp 1
		.amdhsa_ieee_mode 1
		.amdhsa_fp16_overflow 0
		.amdhsa_exception_fp_ieee_invalid_op 0
		.amdhsa_exception_fp_denorm_src 0
		.amdhsa_exception_fp_ieee_div_zero 0
		.amdhsa_exception_fp_ieee_overflow 0
		.amdhsa_exception_fp_ieee_underflow 0
		.amdhsa_exception_fp_ieee_inexact 0
		.amdhsa_exception_int_div_zero 0
	.end_amdhsa_kernel
	.text
.Lfunc_end0:
	.size	fft_rtc_fwd_len1440_factors_10_16_3_3_wgs_90_tpt_90_halfLds_half_ip_CI_unitstride_sbrr_dirReg, .Lfunc_end0-fft_rtc_fwd_len1440_factors_10_16_3_3_wgs_90_tpt_90_halfLds_half_ip_CI_unitstride_sbrr_dirReg
                                        ; -- End function
	.section	.AMDGPU.csdata,"",@progbits
; Kernel info:
; codeLenInByte = 9800
; NumSgprs: 26
; NumVgprs: 77
; ScratchSize: 0
; MemoryBound: 0
; FloatMode: 240
; IeeeMode: 1
; LDSByteSize: 0 bytes/workgroup (compile time only)
; SGPRBlocks: 3
; VGPRBlocks: 19
; NumSGPRsForWavesPerEU: 26
; NumVGPRsForWavesPerEU: 77
; Occupancy: 3
; WaveLimiterHint : 1
; COMPUTE_PGM_RSRC2:SCRATCH_EN: 0
; COMPUTE_PGM_RSRC2:USER_SGPR: 6
; COMPUTE_PGM_RSRC2:TRAP_HANDLER: 0
; COMPUTE_PGM_RSRC2:TGID_X_EN: 1
; COMPUTE_PGM_RSRC2:TGID_Y_EN: 0
; COMPUTE_PGM_RSRC2:TGID_Z_EN: 0
; COMPUTE_PGM_RSRC2:TIDIG_COMP_CNT: 0
	.type	__hip_cuid_308d2d110a393f16,@object ; @__hip_cuid_308d2d110a393f16
	.section	.bss,"aw",@nobits
	.globl	__hip_cuid_308d2d110a393f16
__hip_cuid_308d2d110a393f16:
	.byte	0                               ; 0x0
	.size	__hip_cuid_308d2d110a393f16, 1

	.ident	"AMD clang version 19.0.0git (https://github.com/RadeonOpenCompute/llvm-project roc-6.4.0 25133 c7fe45cf4b819c5991fe208aaa96edf142730f1d)"
	.section	".note.GNU-stack","",@progbits
	.addrsig
	.addrsig_sym __hip_cuid_308d2d110a393f16
	.amdgpu_metadata
---
amdhsa.kernels:
  - .args:
      - .actual_access:  read_only
        .address_space:  global
        .offset:         0
        .size:           8
        .value_kind:     global_buffer
      - .offset:         8
        .size:           8
        .value_kind:     by_value
      - .actual_access:  read_only
        .address_space:  global
        .offset:         16
        .size:           8
        .value_kind:     global_buffer
      - .actual_access:  read_only
        .address_space:  global
        .offset:         24
        .size:           8
        .value_kind:     global_buffer
      - .offset:         32
        .size:           8
        .value_kind:     by_value
      - .actual_access:  read_only
        .address_space:  global
        .offset:         40
        .size:           8
        .value_kind:     global_buffer
      - .actual_access:  read_only
        .address_space:  global
        .offset:         48
        .size:           8
        .value_kind:     global_buffer
      - .offset:         56
        .size:           4
        .value_kind:     by_value
      - .actual_access:  read_only
        .address_space:  global
        .offset:         64
        .size:           8
        .value_kind:     global_buffer
      - .actual_access:  read_only
        .address_space:  global
        .offset:         72
        .size:           8
        .value_kind:     global_buffer
      - .address_space:  global
        .offset:         80
        .size:           8
        .value_kind:     global_buffer
    .group_segment_fixed_size: 0
    .kernarg_segment_align: 8
    .kernarg_segment_size: 88
    .language:       OpenCL C
    .language_version:
      - 2
      - 0
    .max_flat_workgroup_size: 90
    .name:           fft_rtc_fwd_len1440_factors_10_16_3_3_wgs_90_tpt_90_halfLds_half_ip_CI_unitstride_sbrr_dirReg
    .private_segment_fixed_size: 0
    .sgpr_count:     26
    .sgpr_spill_count: 0
    .symbol:         fft_rtc_fwd_len1440_factors_10_16_3_3_wgs_90_tpt_90_halfLds_half_ip_CI_unitstride_sbrr_dirReg.kd
    .uniform_work_group_size: 1
    .uses_dynamic_stack: false
    .vgpr_count:     77
    .vgpr_spill_count: 0
    .wavefront_size: 64
amdhsa.target:   amdgcn-amd-amdhsa--gfx906
amdhsa.version:
  - 1
  - 2
...

	.end_amdgpu_metadata
